;; amdgpu-corpus repo=ROCm/rocFFT kind=compiled arch=gfx1030 opt=O3
	.text
	.amdgcn_target "amdgcn-amd-amdhsa--gfx1030"
	.amdhsa_code_object_version 6
	.protected	bluestein_single_back_len400_dim1_dp_op_CI_CI ; -- Begin function bluestein_single_back_len400_dim1_dp_op_CI_CI
	.globl	bluestein_single_back_len400_dim1_dp_op_CI_CI
	.p2align	8
	.type	bluestein_single_back_len400_dim1_dp_op_CI_CI,@function
bluestein_single_back_len400_dim1_dp_op_CI_CI: ; @bluestein_single_back_len400_dim1_dp_op_CI_CI
; %bb.0:
	s_load_dwordx4 s[8:11], s[4:5], 0x28
	v_mul_u32_u24_e32 v1, 0x667, v0
	s_mov_b32 s0, exec_lo
	v_lshrrev_b32_e32 v1, 16, v1
	v_mad_u64_u32 v[158:159], null, s6, 3, v[1:2]
	v_mov_b32_e32 v159, 0
	s_waitcnt lgkmcnt(0)
	v_cmpx_gt_u64_e64 s[8:9], v[158:159]
	s_cbranch_execz .LBB0_15
; %bb.1:
	s_clause 0x1
	s_load_dwordx4 s[0:3], s[4:5], 0x18
	s_load_dwordx2 s[6:7], s[4:5], 0x0
	v_mul_lo_u16 v1, v1, 40
	v_mul_hi_u32 v66, 0xaaaaaaab, v158
	v_sub_nc_u16 v98, v0, v1
	v_lshrrev_b32_e32 v66, 1, v66
	v_and_b32_e32 v160, 0xffff, v98
	v_lshl_add_u32 v100, v66, 1, v66
	v_lshlrev_b32_e32 v99, 4, v160
	s_waitcnt lgkmcnt(0)
	s_load_dwordx4 s[12:15], s[0:1], 0x0
	v_sub_nc_u32_e32 v100, v158, v100
	v_add_co_u32 v152, s0, s6, v99
	v_add_co_ci_u32_e64 v153, null, s7, 0, s0
	global_load_dwordx4 v[0:3], v99, s[6:7] offset:1600
	v_add_co_u32 v156, vcc_lo, 0x800, v152
	v_add_co_ci_u32_e32 v157, vcc_lo, 0, v153, vcc_lo
	v_add_co_u32 v154, vcc_lo, 0x1000, v152
	v_add_co_ci_u32_e32 v155, vcc_lo, 0, v153, vcc_lo
	v_mul_u32_u24_e32 v100, 0x190, v100
	s_waitcnt lgkmcnt(0)
	v_mad_u64_u32 v[24:25], null, s14, v158, 0
	v_mad_u64_u32 v[26:27], null, s12, v160, 0
	s_mul_i32 s1, s13, 0x64
	s_mul_i32 s0, s12, 0x64
	s_mul_hi_u32 s9, s12, 0xfffffefc
	s_mul_i32 s8, s13, 0xfffffefc
	v_mov_b32_e32 v4, v25
	v_mov_b32_e32 v12, v27
	v_mad_u64_u32 v[27:28], null, s15, v158, v[4:5]
	v_mad_u64_u32 v[28:29], null, s13, v160, v[12:13]
	s_clause 0x1
	global_load_dwordx4 v[4:7], v99, s[6:7]
	global_load_dwordx4 v[8:11], v99, s[6:7] offset:640
	s_mul_hi_u32 s7, s12, 0x64
	s_mul_i32 s6, s12, 0xfffffefc
	s_add_i32 s1, s7, s1
	v_mov_b32_e32 v25, v27
	s_lshl_b64 s[14:15], s[0:1], 4
	v_mov_b32_e32 v27, v28
	s_sub_i32 s0, s9, s12
	s_clause 0x2
	global_load_dwordx4 v[12:15], v[154:155], off offset:704
	global_load_dwordx4 v[16:19], v[156:157], off offset:1152
	;; [unrolled: 1-line block ×3, first 2 shown]
	v_lshlrev_b64 v[24:25], 4, v[24:25]
	s_add_i32 s7, s0, s8
	v_lshlrev_b64 v[26:27], 4, v[26:27]
	s_lshl_b64 s[0:1], s[6:7], 4
	v_add_co_u32 v24, vcc_lo, s10, v24
	v_add_co_ci_u32_e32 v25, vcc_lo, s11, v25, vcc_lo
	v_add_co_u32 v24, vcc_lo, v24, v26
	v_add_co_ci_u32_e32 v25, vcc_lo, v25, v27, vcc_lo
	;; [unrolled: 2-line block ×3, first 2 shown]
	global_load_dwordx4 v[34:37], v[24:25], off
	v_add_co_u32 v28, vcc_lo, v26, s14
	v_add_co_ci_u32_e32 v29, vcc_lo, s15, v27, vcc_lo
	s_clause 0x1
	global_load_dwordx4 v[38:41], v[26:27], off
	global_load_dwordx4 v[42:45], v[28:29], off
	v_add_co_u32 v30, vcc_lo, v28, s14
	v_add_co_ci_u32_e32 v31, vcc_lo, s15, v29, vcc_lo
	v_add_co_u32 v32, vcc_lo, v30, s0
	v_add_co_ci_u32_e32 v33, vcc_lo, s1, v31, vcc_lo
	s_clause 0x1
	global_load_dwordx4 v[46:49], v[30:31], off
	global_load_dwordx4 v[50:53], v[32:33], off
	v_add_co_u32 v24, vcc_lo, v32, s14
	v_add_co_ci_u32_e32 v25, vcc_lo, s15, v33, vcc_lo
	v_add_co_u32 v28, vcc_lo, v24, s14
	v_add_co_ci_u32_e32 v29, vcc_lo, s15, v25, vcc_lo
	;; [unrolled: 2-line block ×3, first 2 shown]
	global_load_dwordx4 v[54:57], v[24:25], off
	global_load_dwordx4 v[24:27], v[156:157], off offset:1792
	global_load_dwordx4 v[58:61], v[28:29], off
	global_load_dwordx4 v[28:31], v[154:155], off offset:1344
	global_load_dwordx4 v[62:65], v[32:33], off
	s_load_dwordx2 s[6:7], s[4:5], 0x38
	s_load_dwordx4 s[8:11], s[2:3], 0x0
	v_cmp_gt_u16_e32 vcc_lo, 20, v98
	s_waitcnt vmcnt(9)
	v_mul_f64 v[66:67], v[36:37], v[6:7]
	v_mul_f64 v[68:69], v[34:35], v[6:7]
	s_waitcnt vmcnt(8)
	v_mul_f64 v[70:71], v[40:41], v[2:3]
	v_mul_f64 v[72:73], v[38:39], v[2:3]
	;; [unrolled: 3-line block ×3, first 2 shown]
	s_waitcnt vmcnt(6)
	v_mul_f64 v[78:79], v[48:49], v[14:15]
	s_waitcnt vmcnt(5)
	v_mul_f64 v[82:83], v[52:53], v[10:11]
	v_mul_f64 v[84:85], v[50:51], v[10:11]
	;; [unrolled: 1-line block ×3, first 2 shown]
	v_fma_f64 v[34:35], v[34:35], v[4:5], v[66:67]
	v_fma_f64 v[36:37], v[36:37], v[4:5], -v[68:69]
	v_fma_f64 v[38:39], v[38:39], v[0:1], v[70:71]
	v_fma_f64 v[40:41], v[40:41], v[0:1], -v[72:73]
	s_waitcnt vmcnt(4)
	v_mul_f64 v[86:87], v[56:57], v[22:23]
	v_mul_f64 v[88:89], v[54:55], v[22:23]
	s_waitcnt vmcnt(2)
	v_mul_f64 v[90:91], v[60:61], v[26:27]
	v_mul_f64 v[92:93], v[58:59], v[26:27]
	;; [unrolled: 3-line block ×3, first 2 shown]
	v_fma_f64 v[42:43], v[42:43], v[16:17], v[74:75]
	v_fma_f64 v[44:45], v[44:45], v[16:17], -v[76:77]
	v_fma_f64 v[46:47], v[46:47], v[12:13], v[78:79]
	v_fma_f64 v[50:51], v[50:51], v[8:9], v[82:83]
	v_fma_f64 v[52:53], v[52:53], v[8:9], -v[84:85]
	v_fma_f64 v[48:49], v[48:49], v[12:13], -v[80:81]
	v_lshlrev_b32_e32 v80, 4, v100
	v_add_nc_u32_e32 v159, v99, v80
	ds_write_b128 v159, v[34:37]
	ds_write_b128 v159, v[38:41] offset:1600
	ds_write_b128 v159, v[42:45] offset:3200
	;; [unrolled: 1-line block ×3, first 2 shown]
	v_fma_f64 v[54:55], v[54:55], v[20:21], v[86:87]
	v_fma_f64 v[56:57], v[56:57], v[20:21], -v[88:89]
	v_fma_f64 v[58:59], v[58:59], v[24:25], v[90:91]
	v_fma_f64 v[60:61], v[60:61], v[24:25], -v[92:93]
	;; [unrolled: 2-line block ×3, first 2 shown]
	ds_write_b128 v159, v[50:53] offset:640
	ds_write_b128 v159, v[54:57] offset:2240
	;; [unrolled: 1-line block ×4, first 2 shown]
	s_and_saveexec_b32 s2, vcc_lo
	s_cbranch_execz .LBB0_3
; %bb.2:
	v_add_co_u32 v36, s0, v32, s0
	v_add_co_ci_u32_e64 v37, s0, s1, v33, s0
	v_add_co_u32 v40, s0, v36, s14
	v_add_co_ci_u32_e64 v41, s0, s15, v37, s0
	global_load_dwordx4 v[32:35], v[36:37], off
	v_add_co_u32 v48, s0, v40, s14
	v_add_co_ci_u32_e64 v49, s0, s15, v41, s0
	global_load_dwordx4 v[36:39], v[152:153], off offset:1280
	v_add_co_u32 v60, s0, v48, s14
	global_load_dwordx4 v[40:43], v[40:41], off
	v_add_co_ci_u32_e64 v61, s0, s15, v49, s0
	global_load_dwordx4 v[44:47], v[156:157], off offset:832
	global_load_dwordx4 v[48:51], v[48:49], off
	s_clause 0x1
	global_load_dwordx4 v[52:55], v[154:155], off offset:384
	global_load_dwordx4 v[56:59], v[154:155], off offset:1984
	global_load_dwordx4 v[60:63], v[60:61], off
	s_waitcnt vmcnt(6)
	v_mul_f64 v[64:65], v[34:35], v[38:39]
	v_mul_f64 v[38:39], v[32:33], v[38:39]
	s_waitcnt vmcnt(4)
	v_mul_f64 v[66:67], v[42:43], v[46:47]
	v_mul_f64 v[46:47], v[40:41], v[46:47]
	;; [unrolled: 3-line block ×4, first 2 shown]
	v_fma_f64 v[32:33], v[32:33], v[36:37], v[64:65]
	v_fma_f64 v[34:35], v[34:35], v[36:37], -v[38:39]
	v_fma_f64 v[36:37], v[40:41], v[44:45], v[66:67]
	v_fma_f64 v[38:39], v[42:43], v[44:45], -v[46:47]
	;; [unrolled: 2-line block ×4, first 2 shown]
	ds_write_b128 v159, v[32:35] offset:1280
	ds_write_b128 v159, v[36:39] offset:2880
	;; [unrolled: 1-line block ×4, first 2 shown]
.LBB0_3:
	s_or_b32 exec_lo, exec_lo, s2
	s_waitcnt lgkmcnt(0)
	s_barrier
	buffer_gl0_inv
	ds_read_b128 v[36:39], v159
	ds_read_b128 v[40:43], v159 offset:640
	ds_read_b128 v[48:51], v159 offset:1600
	;; [unrolled: 1-line block ×7, first 2 shown]
                                        ; implicit-def: $vgpr32_vgpr33
                                        ; implicit-def: $vgpr56_vgpr57
                                        ; implicit-def: $vgpr64_vgpr65
                                        ; implicit-def: $vgpr52_vgpr53
	s_and_saveexec_b32 s0, vcc_lo
	s_cbranch_execz .LBB0_5
; %bb.4:
	ds_read_b128 v[32:35], v159 offset:1280
	ds_read_b128 v[52:55], v159 offset:2880
	;; [unrolled: 1-line block ×4, first 2 shown]
.LBB0_5:
	s_or_b32 exec_lo, exec_lo, s0
	s_waitcnt lgkmcnt(2)
	v_add_f64 v[68:69], v[40:41], -v[68:69]
	v_add_f64 v[70:71], v[42:43], -v[70:71]
	s_waitcnt lgkmcnt(0)
	v_add_f64 v[81:82], v[44:45], -v[60:61]
	v_add_f64 v[83:84], v[46:47], -v[62:63]
	;; [unrolled: 1-line block ×8, first 2 shown]
	s_load_dwordx2 s[18:19], s[4:5], 0x8
	v_lshlrev_b16 v93, 2, v160
	v_lshl_add_u32 v164, v160, 6, v80
	s_waitcnt lgkmcnt(0)
	s_barrier
	buffer_gl0_inv
	v_fma_f64 v[89:90], v[40:41], 2.0, -v[68:69]
	v_fma_f64 v[91:92], v[42:43], 2.0, -v[70:71]
	v_fma_f64 v[40:41], v[44:45], 2.0, -v[81:82]
	v_fma_f64 v[42:43], v[46:47], 2.0, -v[83:84]
	v_add_f64 v[44:45], v[52:53], -v[56:57]
	v_add_f64 v[46:47], v[54:55], -v[58:59]
	v_fma_f64 v[85:86], v[36:37], 2.0, -v[76:77]
	v_fma_f64 v[87:88], v[38:39], 2.0, -v[78:79]
	;; [unrolled: 1-line block ×4, first 2 shown]
	v_add_f64 v[48:49], v[68:69], -v[83:84]
	v_add_f64 v[50:51], v[70:71], v[81:82]
	v_fma_f64 v[32:33], v[32:33], 2.0, -v[60:61]
	v_fma_f64 v[34:35], v[34:35], 2.0, -v[62:63]
	v_add_f64 v[36:37], v[76:77], -v[74:75]
	v_add_f64 v[38:39], v[78:79], v[72:73]
	v_fma_f64 v[81:82], v[52:53], 2.0, -v[44:45]
	v_fma_f64 v[83:84], v[54:55], 2.0, -v[46:47]
	v_add_f64 v[56:57], v[85:86], -v[64:65]
	v_add_f64 v[58:59], v[87:88], -v[66:67]
	;; [unrolled: 1-line block ×5, first 2 shown]
	v_add_f64 v[42:43], v[62:63], v[44:45]
	v_fma_f64 v[52:53], v[76:77], 2.0, -v[36:37]
	v_fma_f64 v[54:55], v[78:79], 2.0, -v[38:39]
	;; [unrolled: 1-line block ×4, first 2 shown]
	v_add_f64 v[44:45], v[32:33], -v[81:82]
	v_add_f64 v[46:47], v[34:35], -v[83:84]
	v_and_b32_e32 v81, 0xffff, v93
	v_add_co_u32 v82, null, 0x50, v160
	v_fma_f64 v[72:73], v[85:86], 2.0, -v[56:57]
	v_fma_f64 v[74:75], v[87:88], 2.0, -v[58:59]
	;; [unrolled: 1-line block ×4, first 2 shown]
	v_lshl_add_u32 v162, v81, 4, v80
	v_lshl_add_u32 v161, v82, 6, v80
	ds_write_b128 v162, v[36:39] offset:48
	ds_write_b128 v162, v[52:55] offset:16
	;; [unrolled: 1-line block ×5, first 2 shown]
	ds_write_b128 v162, v[72:75]
	ds_write_b128 v164, v[76:79] offset:2560
	ds_write_b128 v164, v[48:51] offset:2608
	s_and_saveexec_b32 s0, vcc_lo
	s_cbranch_execz .LBB0_7
; %bb.6:
	v_fma_f64 v[50:51], v[34:35], 2.0, -v[46:47]
	v_fma_f64 v[48:49], v[32:33], 2.0, -v[44:45]
	;; [unrolled: 1-line block ×4, first 2 shown]
	ds_write_b128 v161, v[44:47] offset:32
	ds_write_b128 v161, v[48:51]
	ds_write_b128 v161, v[34:37] offset:16
	ds_write_b128 v161, v[40:43] offset:48
.LBB0_7:
	s_or_b32 exec_lo, exec_lo, s0
	v_and_b32_e32 v76, 3, v160
	s_waitcnt lgkmcnt(0)
	s_barrier
	buffer_gl0_inv
	s_mov_b32 s0, 0x134454ff
	v_mad_u64_u32 v[60:61], null, 0x90, v76, s[18:19]
	s_mov_b32 s1, 0x3fee6f0e
	s_mov_b32 s13, 0xbfee6f0e
	;; [unrolled: 1-line block ×6, first 2 shown]
	s_clause 0x8
	global_load_dwordx4 v[36:39], v[60:61], off offset:32
	global_load_dwordx4 v[52:55], v[60:61], off offset:64
	;; [unrolled: 1-line block ×4, first 2 shown]
	global_load_dwordx4 v[32:35], v[60:61], off
	global_load_dwordx4 v[72:75], v[60:61], off offset:16
	global_load_dwordx4 v[68:71], v[60:61], off offset:48
	;; [unrolled: 1-line block ×4, first 2 shown]
	ds_read_b128 v[81:84], v159 offset:1920
	ds_read_b128 v[85:88], v159 offset:3200
	;; [unrolled: 1-line block ×9, first 2 shown]
	ds_read_b128 v[117:120], v159
	s_mov_b32 s14, s2
	s_mov_b32 s4, 0x372fe950
	;; [unrolled: 1-line block ×5, first 2 shown]
	v_lshrrev_b32_e32 v79, 2, v160
	s_waitcnt vmcnt(0) lgkmcnt(0)
	s_barrier
	buffer_gl0_inv
	v_mul_u32_u24_e32 v79, 40, v79
	v_or_b32_e32 v76, v79, v76
	v_lshl_add_u32 v163, v76, 4, v80
	v_mul_f64 v[77:78], v[83:84], v[38:39]
	v_mul_f64 v[121:122], v[81:82], v[38:39]
	;; [unrolled: 1-line block ×17, first 2 shown]
	v_fma_f64 v[77:78], v[81:82], v[36:37], -v[77:78]
	v_fma_f64 v[81:82], v[83:84], v[36:37], v[121:122]
	v_fma_f64 v[83:84], v[85:86], v[52:53], -v[123:124]
	v_fma_f64 v[85:86], v[87:88], v[52:53], v[125:126]
	;; [unrolled: 2-line block ×3, first 2 shown]
	v_fma_f64 v[91:92], v[95:96], v[56:57], v[131:132]
	v_fma_f64 v[93:94], v[93:94], v[56:57], -v[133:134]
	v_mul_f64 v[95:96], v[115:116], v[62:63]
	v_fma_f64 v[97:98], v[97:98], v[32:33], -v[135:136]
	v_fma_f64 v[99:100], v[99:100], v[32:33], v[137:138]
	v_fma_f64 v[101:102], v[101:102], v[72:73], -v[139:140]
	v_fma_f64 v[103:104], v[103:104], v[72:73], v[141:142]
	;; [unrolled: 2-line block ×4, first 2 shown]
	v_fma_f64 v[115:116], v[115:116], v[60:61], v[165:166]
	v_add_f64 v[175:176], v[77:78], -v[83:84]
	v_add_f64 v[183:184], v[81:82], -v[85:86]
	v_add_f64 v[121:122], v[83:84], v[87:88]
	v_add_f64 v[123:124], v[85:86], v[89:90]
	;; [unrolled: 1-line block ×4, first 2 shown]
	v_fma_f64 v[95:96], v[113:114], v[60:61], -v[95:96]
	v_add_f64 v[135:136], v[81:82], -v[91:92]
	v_add_f64 v[139:140], v[77:78], -v[93:94]
	;; [unrolled: 1-line block ×6, first 2 shown]
	v_add_f64 v[129:130], v[105:106], v[109:110]
	v_add_f64 v[169:170], v[107:108], v[111:112]
	;; [unrolled: 1-line block ×3, first 2 shown]
	v_add_f64 v[179:180], v[83:84], -v[77:78]
	v_add_f64 v[181:182], v[87:88], -v[93:94]
	;; [unrolled: 1-line block ×4, first 2 shown]
	v_add_f64 v[113:114], v[117:118], v[101:102]
	v_add_f64 v[167:168], v[119:120], v[103:104]
	v_add_f64 v[77:78], v[97:98], v[77:78]
	v_add_f64 v[81:82], v[99:100], v[81:82]
	v_fma_f64 v[121:122], v[121:122], -0.5, v[97:98]
	v_fma_f64 v[123:124], v[123:124], -0.5, v[99:100]
	;; [unrolled: 1-line block ×4, first 2 shown]
	v_add_f64 v[147:148], v[101:102], v[95:96]
	v_add_f64 v[131:132], v[103:104], -v[115:116]
	v_add_f64 v[133:134], v[107:108], -v[111:112]
	;; [unrolled: 1-line block ×6, first 2 shown]
	v_fma_f64 v[97:98], v[129:130], -0.5, v[117:118]
	v_add_f64 v[129:130], v[175:176], v[177:178]
	v_add_f64 v[145:146], v[95:96], -v[109:110]
	v_add_f64 v[165:166], v[109:110], -v[95:96]
	v_add_f64 v[199:200], v[103:104], -v[107:108]
	v_add_f64 v[103:104], v[107:108], -v[103:104]
	v_add_f64 v[201:202], v[115:116], -v[111:112]
	v_add_f64 v[105:106], v[113:114], v[105:106]
	v_add_f64 v[107:108], v[167:168], v[107:108]
	v_add_f64 v[77:78], v[77:78], v[83:84]
	v_add_f64 v[81:82], v[81:82], v[85:86]
	v_fma_f64 v[197:198], v[135:136], s[12:13], v[121:122]
	v_fma_f64 v[191:192], v[139:140], s[12:13], v[123:124]
	;; [unrolled: 1-line block ×8, first 2 shown]
	v_fma_f64 v[99:100], v[147:148], -0.5, v[117:118]
	v_fma_f64 v[117:118], v[169:170], -0.5, v[119:120]
	;; [unrolled: 1-line block ×3, first 2 shown]
	v_add_f64 v[169:170], v[183:184], v[185:186]
	v_add_f64 v[147:148], v[179:180], v[181:182]
	;; [unrolled: 1-line block ×3, first 2 shown]
	v_add_f64 v[203:204], v[111:112], -v[115:116]
	v_fma_f64 v[83:84], v[131:132], s[0:1], v[97:98]
	v_fma_f64 v[85:86], v[131:132], s[12:13], v[97:98]
	v_add_f64 v[113:114], v[143:144], v[145:146]
	v_add_f64 v[105:106], v[105:106], v[109:110]
	;; [unrolled: 1-line block ×5, first 2 shown]
	v_fma_f64 v[181:182], v[137:138], s[14:15], v[197:198]
	v_fma_f64 v[175:176], v[141:142], s[14:15], v[191:192]
	;; [unrolled: 1-line block ×11, first 2 shown]
	v_add_f64 v[135:136], v[149:150], v[165:166]
	v_fma_f64 v[99:100], v[133:134], s[0:1], v[99:100]
	v_fma_f64 v[117:118], v[101:102], s[0:1], v[117:118]
	v_fma_f64 v[119:120], v[171:172], s[12:13], v[119:120]
	v_add_f64 v[103:104], v[103:104], v[203:204]
	v_fma_f64 v[83:84], v[133:134], s[2:3], v[83:84]
	v_fma_f64 v[85:86], v[133:134], s[14:15], v[85:86]
	v_add_f64 v[95:96], v[105:106], v[95:96]
	v_add_f64 v[105:106], v[107:108], v[115:116]
	;; [unrolled: 1-line block ×4, first 2 shown]
	v_fma_f64 v[149:150], v[129:130], s[4:5], v[181:182]
	v_fma_f64 v[141:142], v[169:170], s[4:5], v[175:176]
	;; [unrolled: 1-line block ×8, first 2 shown]
	v_add_f64 v[129:130], v[199:200], v[201:202]
	v_fma_f64 v[87:88], v[131:132], s[2:3], v[97:98]
	v_fma_f64 v[97:98], v[171:172], s[14:15], v[137:138]
	;; [unrolled: 1-line block ×8, first 2 shown]
	v_add_f64 v[81:82], v[95:96], v[77:78]
	v_add_f64 v[83:84], v[105:106], v[91:92]
	v_mul_f64 v[131:132], v[149:150], s[16:17]
	v_mul_f64 v[111:112], v[141:142], s[2:3]
	;; [unrolled: 1-line block ×8, first 2 shown]
	v_add_f64 v[85:86], v[95:96], -v[77:78]
	v_fma_f64 v[113:114], v[135:136], s[4:5], v[87:88]
	v_fma_f64 v[165:166], v[129:130], s[4:5], v[97:98]
	;; [unrolled: 1-line block ×6, first 2 shown]
	v_add_f64 v[87:88], v[105:106], -v[91:92]
	v_mad_u64_u32 v[76:77], null, 0x90, v160, s[18:19]
	v_fma_f64 v[109:110], v[121:122], s[16:17], v[111:112]
	v_fma_f64 v[121:122], v[141:142], s[16:17], v[133:134]
	;; [unrolled: 1-line block ×3, first 2 shown]
	v_fma_f64 v[117:118], v[125:126], s[0:1], -v[119:120]
	v_fma_f64 v[119:120], v[123:124], s[2:3], -v[131:132]
	v_fma_f64 v[123:124], v[143:144], s[4:5], v[137:138]
	v_fma_f64 v[125:126], v[145:146], s[12:13], -v[139:140]
	v_fma_f64 v[127:128], v[149:150], s[14:15], -v[147:148]
	v_add_f64 v[89:90], v[107:108], v[109:110]
	v_add_f64 v[91:92], v[165:166], v[121:122]
	v_add_f64 v[93:94], v[113:114], v[111:112]
	v_add_f64 v[97:98], v[135:136], v[117:118]
	v_add_f64 v[101:102], v[115:116], v[119:120]
	v_add_f64 v[95:96], v[167:168], v[123:124]
	v_add_f64 v[99:100], v[169:170], v[125:126]
	v_add_f64 v[103:104], v[129:130], v[127:128]
	v_add_f64 v[105:106], v[107:108], -v[109:110]
	v_add_f64 v[107:108], v[165:166], -v[121:122]
	;; [unrolled: 1-line block ×8, first 2 shown]
	ds_write_b128 v163, v[81:84]
	ds_write_b128 v163, v[85:88] offset:320
	ds_write_b128 v163, v[89:92] offset:64
	;; [unrolled: 1-line block ×9, first 2 shown]
	s_waitcnt lgkmcnt(0)
	s_barrier
	buffer_gl0_inv
	s_clause 0x8
	global_load_dwordx4 v[80:83], v[76:77], off offset:640
	global_load_dwordx4 v[88:91], v[76:77], off offset:608
	;; [unrolled: 1-line block ×9, first 2 shown]
	ds_read_b128 v[112:115], v159 offset:3200
	ds_read_b128 v[116:119], v159 offset:1920
	;; [unrolled: 1-line block ×9, first 2 shown]
	ds_read_b128 v[148:151], v159
	s_waitcnt vmcnt(8) lgkmcnt(9)
	v_mul_f64 v[165:166], v[114:115], v[82:83]
	s_waitcnt vmcnt(7) lgkmcnt(8)
	v_mul_f64 v[169:170], v[116:117], v[90:91]
	v_mul_f64 v[171:172], v[112:113], v[82:83]
	s_waitcnt vmcnt(6) lgkmcnt(7)
	v_mul_f64 v[173:174], v[120:121], v[86:87]
	s_waitcnt vmcnt(5) lgkmcnt(6)
	v_mul_f64 v[175:176], v[124:125], v[94:95]
	v_mul_f64 v[179:180], v[122:123], v[86:87]
	;; [unrolled: 1-line block ×4, first 2 shown]
	s_waitcnt vmcnt(0) lgkmcnt(1)
	v_mul_f64 v[197:198], v[146:147], v[78:79]
	v_mul_f64 v[199:200], v[144:145], v[78:79]
	;; [unrolled: 1-line block ×10, first 2 shown]
	v_fma_f64 v[112:113], v[112:113], v[80:81], -v[165:166]
	v_fma_f64 v[118:119], v[118:119], v[88:89], v[169:170]
	v_fma_f64 v[114:115], v[114:115], v[80:81], v[171:172]
	;; [unrolled: 1-line block ×4, first 2 shown]
	v_fma_f64 v[120:121], v[120:121], v[84:85], -v[179:180]
	v_fma_f64 v[116:117], v[116:117], v[88:89], -v[167:168]
	;; [unrolled: 1-line block ×4, first 2 shown]
	v_fma_f64 v[146:147], v[146:147], v[76:77], v[199:200]
	v_fma_f64 v[128:129], v[128:129], v[108:109], -v[181:182]
	v_fma_f64 v[130:131], v[130:131], v[108:109], v[183:184]
	v_fma_f64 v[132:133], v[132:133], v[104:105], -v[185:186]
	;; [unrolled: 2-line block ×3, first 2 shown]
	v_fma_f64 v[140:141], v[140:141], v[96:97], -v[191:192]
	v_fma_f64 v[138:139], v[138:139], v[100:101], v[193:194]
	v_fma_f64 v[142:143], v[142:143], v[96:97], v[195:196]
	v_add_f64 v[209:210], v[118:119], -v[114:115]
	v_add_f64 v[165:166], v[114:115], v[122:123]
	v_add_f64 v[167:168], v[118:119], v[126:127]
	;; [unrolled: 1-line block ×3, first 2 shown]
	v_add_f64 v[181:182], v[118:119], -v[126:127]
	v_add_f64 v[169:170], v[116:117], v[124:125]
	v_add_f64 v[185:186], v[112:113], -v[120:121]
	v_add_f64 v[187:188], v[116:117], -v[124:125]
	;; [unrolled: 1-line block ×6, first 2 shown]
	v_add_f64 v[173:174], v[132:133], v[136:137]
	v_add_f64 v[175:176], v[128:129], v[140:141]
	;; [unrolled: 1-line block ×4, first 2 shown]
	v_add_f64 v[203:204], v[120:121], -v[124:125]
	v_add_f64 v[211:212], v[126:127], -v[122:123]
	;; [unrolled: 1-line block ×4, first 2 shown]
	s_waitcnt lgkmcnt(0)
	v_add_f64 v[205:206], v[148:149], v[128:129]
	v_add_f64 v[207:208], v[150:151], v[130:131]
	;; [unrolled: 1-line block ×3, first 2 shown]
	v_fma_f64 v[165:166], v[165:166], -0.5, v[146:147]
	v_fma_f64 v[167:168], v[167:168], -0.5, v[146:147]
	;; [unrolled: 1-line block ×3, first 2 shown]
	v_add_f64 v[118:119], v[146:147], v[118:119]
	v_fma_f64 v[169:170], v[169:170], -0.5, v[144:145]
	v_add_f64 v[189:190], v[128:129], -v[132:133]
	v_add_f64 v[191:192], v[140:141], -v[136:137]
	;; [unrolled: 1-line block ×7, first 2 shown]
	v_fma_f64 v[173:174], v[173:174], -0.5, v[148:149]
	v_fma_f64 v[148:149], v[175:176], -0.5, v[148:149]
	;; [unrolled: 1-line block ×4, first 2 shown]
	v_add_f64 v[177:178], v[197:198], v[199:200]
	v_add_f64 v[179:180], v[201:202], v[203:204]
	;; [unrolled: 1-line block ×4, first 2 shown]
	v_add_f64 v[195:196], v[136:137], -v[140:141]
	v_add_f64 v[146:147], v[130:131], -v[134:135]
	v_fma_f64 v[217:218], v[187:188], s[12:13], v[165:166]
	v_fma_f64 v[219:220], v[185:186], s[0:1], v[167:168]
	;; [unrolled: 1-line block ×8, first 2 shown]
	v_add_f64 v[130:131], v[134:135], -v[130:131]
	v_add_f64 v[132:133], v[205:206], v[132:133]
	v_add_f64 v[134:135], v[207:208], v[134:135]
	;; [unrolled: 1-line block ×4, first 2 shown]
	v_add_f64 v[229:230], v[142:143], -v[138:139]
	v_fma_f64 v[116:117], v[144:145], s[0:1], v[173:174]
	v_fma_f64 v[118:119], v[144:145], s[12:13], v[173:174]
	;; [unrolled: 1-line block ×4, first 2 shown]
	v_add_f64 v[231:232], v[138:139], -v[142:143]
	v_fma_f64 v[201:202], v[185:186], s[14:15], v[217:218]
	v_fma_f64 v[203:204], v[187:188], s[14:15], v[219:220]
	;; [unrolled: 1-line block ×8, first 2 shown]
	v_add_f64 v[181:182], v[189:190], v[191:192]
	v_fma_f64 v[185:186], v[128:129], s[12:13], v[175:176]
	v_fma_f64 v[175:176], v[128:129], s[0:1], v[175:176]
	;; [unrolled: 1-line block ×4, first 2 shown]
	v_add_f64 v[183:184], v[193:194], v[195:196]
	v_add_f64 v[132:133], v[132:133], v[136:137]
	;; [unrolled: 1-line block ×6, first 2 shown]
	v_fma_f64 v[116:117], v[225:226], s[2:3], v[116:117]
	v_fma_f64 v[118:119], v[225:226], s[14:15], v[118:119]
	;; [unrolled: 1-line block ×16, first 2 shown]
	v_add_f64 v[130:131], v[130:131], v[231:232]
	v_add_f64 v[132:133], v[132:133], v[140:141]
	;; [unrolled: 1-line block ×5, first 2 shown]
	v_fma_f64 v[116:117], v[181:182], s[4:5], v[116:117]
	v_fma_f64 v[118:119], v[181:182], s[4:5], v[118:119]
	;; [unrolled: 1-line block ×3, first 2 shown]
	v_mul_f64 v[148:149], v[189:190], s[2:3]
	v_mul_f64 v[150:151], v[191:192], s[0:1]
	;; [unrolled: 1-line block ×8, first 2 shown]
	v_fma_f64 v[181:182], v[183:184], s[4:5], v[122:123]
	v_fma_f64 v[183:184], v[146:147], s[4:5], v[136:137]
	;; [unrolled: 1-line block ×5, first 2 shown]
	v_add_f64 v[122:123], v[132:133], v[112:113]
	v_add_f64 v[124:125], v[134:135], v[114:115]
	v_add_f64 v[126:127], v[132:133], -v[112:113]
	v_add_f64 v[128:129], v[134:135], -v[114:115]
	v_fma_f64 v[146:147], v[171:172], s[16:17], v[148:149]
	v_fma_f64 v[148:149], v[169:170], s[4:5], v[150:151]
	;; [unrolled: 1-line block ×3, first 2 shown]
	v_fma_f64 v[150:151], v[167:168], s[0:1], -v[173:174]
	v_fma_f64 v[171:172], v[191:192], s[4:5], v[179:180]
	v_fma_f64 v[173:174], v[193:194], s[12:13], -v[185:186]
	v_fma_f64 v[167:168], v[165:166], s[2:3], -v[175:176]
	;; [unrolled: 1-line block ×3, first 2 shown]
	v_add_f64 v[130:131], v[116:117], v[146:147]
	v_add_f64 v[134:135], v[120:121], v[148:149]
	v_add_f64 v[146:147], v[116:117], -v[146:147]
	v_add_f64 v[132:133], v[183:184], v[169:170]
	v_add_f64 v[138:139], v[181:182], v[150:151]
	;; [unrolled: 1-line block ×6, first 2 shown]
	v_add_f64 v[165:166], v[120:121], -v[148:149]
	v_add_f64 v[148:149], v[183:184], -v[169:170]
	;; [unrolled: 1-line block ×7, first 2 shown]
	v_add_co_u32 v150, s0, 0x1800, v152
	v_add_co_ci_u32_e64 v151, s0, 0, v153, s0
	v_add_co_u32 v120, s0, 0x1900, v152
	v_add_co_ci_u32_e64 v121, s0, 0, v153, s0
	v_add_co_u32 v169, s0, 0x2000, v152
	ds_write_b128 v159, v[122:125]
	ds_write_b128 v159, v[126:129] offset:3200
	ds_write_b128 v159, v[130:133] offset:640
	;; [unrolled: 1-line block ×9, first 2 shown]
	s_waitcnt lgkmcnt(0)
	s_barrier
	buffer_gl0_inv
	global_load_dwordx4 v[122:125], v[150:151], off offset:256
	v_add_co_ci_u32_e64 v170, s0, 0, v153, s0
	v_add_co_u32 v150, s0, 0x2800, v152
	v_add_co_ci_u32_e64 v151, s0, 0, v153, s0
	s_clause 0x6
	global_load_dwordx4 v[126:129], v[120:121], off offset:1600
	global_load_dwordx4 v[130:133], v[169:170], off offset:1408
	;; [unrolled: 1-line block ×5, first 2 shown]
	global_load_dwordx4 v[146:149], v[150:151], off
	global_load_dwordx4 v[165:168], v[150:151], off offset:1600
	ds_read_b128 v[169:172], v159
	ds_read_b128 v[173:176], v159 offset:1600
	ds_read_b128 v[177:180], v159 offset:3200
	;; [unrolled: 1-line block ×7, first 2 shown]
	s_waitcnt vmcnt(7) lgkmcnt(7)
	v_mul_f64 v[150:151], v[171:172], v[124:125]
	v_mul_f64 v[124:125], v[169:170], v[124:125]
	s_waitcnt vmcnt(6) lgkmcnt(6)
	v_mul_f64 v[201:202], v[175:176], v[128:129]
	v_mul_f64 v[128:129], v[173:174], v[128:129]
	;; [unrolled: 3-line block ×8, first 2 shown]
	v_fma_f64 v[148:149], v[169:170], v[122:123], -v[150:151]
	v_fma_f64 v[150:151], v[171:172], v[122:123], v[124:125]
	v_fma_f64 v[122:123], v[173:174], v[126:127], -v[201:202]
	v_fma_f64 v[124:125], v[175:176], v[126:127], v[128:129]
	;; [unrolled: 2-line block ×8, first 2 shown]
	ds_write_b128 v159, v[148:151]
	ds_write_b128 v159, v[122:125] offset:1600
	ds_write_b128 v159, v[126:129] offset:3200
	ds_write_b128 v159, v[130:133] offset:4800
	ds_write_b128 v159, v[134:137] offset:640
	ds_write_b128 v159, v[138:141] offset:2240
	ds_write_b128 v159, v[142:145] offset:3840
	ds_write_b128 v159, v[167:170] offset:5440
	s_and_saveexec_b32 s1, vcc_lo
	s_cbranch_execz .LBB0_9
; %bb.8:
	v_add_co_u32 v124, s0, 0x800, v120
	v_add_co_ci_u32_e64 v125, s0, 0, v121, s0
	v_add_co_u32 v132, s0, 0x1000, v120
	v_add_co_ci_u32_e64 v133, s0, 0, v121, s0
	s_clause 0x3
	global_load_dwordx4 v[120:123], v[120:121], off offset:1280
	global_load_dwordx4 v[124:127], v[124:125], off offset:832
	;; [unrolled: 1-line block ×4, first 2 shown]
	ds_read_b128 v[136:139], v159 offset:1280
	ds_read_b128 v[140:143], v159 offset:2880
	;; [unrolled: 1-line block ×4, first 2 shown]
	s_waitcnt vmcnt(3) lgkmcnt(3)
	v_mul_f64 v[165:166], v[138:139], v[122:123]
	v_mul_f64 v[122:123], v[136:137], v[122:123]
	s_waitcnt vmcnt(2) lgkmcnt(2)
	v_mul_f64 v[167:168], v[142:143], v[126:127]
	v_mul_f64 v[126:127], v[140:141], v[126:127]
	;; [unrolled: 3-line block ×4, first 2 shown]
	v_fma_f64 v[134:135], v[136:137], v[120:121], -v[165:166]
	v_fma_f64 v[136:137], v[138:139], v[120:121], v[122:123]
	v_fma_f64 v[120:121], v[140:141], v[124:125], -v[167:168]
	v_fma_f64 v[122:123], v[142:143], v[124:125], v[126:127]
	;; [unrolled: 2-line block ×4, first 2 shown]
	ds_write_b128 v159, v[134:137] offset:1280
	ds_write_b128 v159, v[120:123] offset:2880
	;; [unrolled: 1-line block ×4, first 2 shown]
.LBB0_9:
	s_or_b32 exec_lo, exec_lo, s1
	s_waitcnt lgkmcnt(0)
	s_barrier
	buffer_gl0_inv
	ds_read_b128 v[120:123], v159
	ds_read_b128 v[124:127], v159 offset:640
	ds_read_b128 v[132:135], v159 offset:1600
	ds_read_b128 v[128:131], v159 offset:2240
	ds_read_b128 v[148:151], v159 offset:3200
	ds_read_b128 v[140:143], v159 offset:3840
	ds_read_b128 v[144:147], v159 offset:4800
	ds_read_b128 v[136:139], v159 offset:5440
	v_add_nc_u32_e32 v164, 0xa00, v164
	s_and_saveexec_b32 s0, vcc_lo
	s_cbranch_execz .LBB0_11
; %bb.10:
	ds_read_b128 v[112:115], v159 offset:1280
	ds_read_b128 v[116:119], v159 offset:2880
	;; [unrolled: 1-line block ×4, first 2 shown]
.LBB0_11:
	s_or_b32 exec_lo, exec_lo, s0
	s_waitcnt lgkmcnt(3)
	v_add_f64 v[148:149], v[120:121], -v[148:149]
	v_add_f64 v[150:151], v[122:123], -v[150:151]
	s_waitcnt lgkmcnt(1)
	v_add_f64 v[144:145], v[132:133], -v[144:145]
	v_add_f64 v[146:147], v[134:135], -v[146:147]
	;; [unrolled: 1-line block ×4, first 2 shown]
	s_waitcnt lgkmcnt(0)
	v_add_f64 v[136:137], v[128:129], -v[136:137]
	v_add_f64 v[138:139], v[130:131], -v[138:139]
	s_barrier
	buffer_gl0_inv
	v_fma_f64 v[165:166], v[120:121], 2.0, -v[148:149]
	v_fma_f64 v[167:168], v[122:123], 2.0, -v[150:151]
	;; [unrolled: 1-line block ×8, first 2 shown]
	v_add_f64 v[120:121], v[148:149], v[146:147]
	v_add_f64 v[122:123], v[150:151], -v[144:145]
	v_add_f64 v[124:125], v[140:141], v[138:139]
	v_add_f64 v[126:127], v[142:143], -v[136:137]
	v_add_f64 v[128:129], v[165:166], -v[132:133]
	;; [unrolled: 1-line block ×5, first 2 shown]
	v_fma_f64 v[136:137], v[148:149], 2.0, -v[120:121]
	v_fma_f64 v[138:139], v[150:151], 2.0, -v[122:123]
	;; [unrolled: 1-line block ×8, first 2 shown]
	ds_write_b128 v162, v[120:123] offset:48
	ds_write_b128 v162, v[136:139] offset:16
	;; [unrolled: 1-line block ×5, first 2 shown]
	ds_write_b128 v162, v[144:147]
	ds_write_b128 v164, v[148:151]
	ds_write_b128 v164, v[124:127] offset:48
	s_and_saveexec_b32 s0, vcc_lo
	s_cbranch_execz .LBB0_13
; %bb.12:
	v_add_f64 v[120:121], v[114:115], -v[46:47]
	v_add_f64 v[46:47], v[118:119], -v[42:43]
	v_add_f64 v[122:123], v[112:113], -v[44:45]
	v_add_f64 v[40:41], v[116:117], -v[40:41]
	v_fma_f64 v[124:125], v[114:115], 2.0, -v[120:121]
	v_fma_f64 v[44:45], v[118:119], 2.0, -v[46:47]
	;; [unrolled: 1-line block ×4, first 2 shown]
	v_add_f64 v[42:43], v[120:121], -v[40:41]
	v_add_f64 v[40:41], v[122:123], v[46:47]
	v_add_f64 v[46:47], v[124:125], -v[44:45]
	v_add_f64 v[44:45], v[126:127], -v[112:113]
	v_fma_f64 v[114:115], v[120:121], 2.0, -v[42:43]
	v_fma_f64 v[112:113], v[122:123], 2.0, -v[40:41]
	;; [unrolled: 1-line block ×4, first 2 shown]
	ds_write_b128 v161, v[112:115] offset:16
	ds_write_b128 v161, v[44:47] offset:32
	ds_write_b128 v161, v[116:119]
	ds_write_b128 v161, v[40:43] offset:48
.LBB0_13:
	s_or_b32 exec_lo, exec_lo, s0
	s_waitcnt lgkmcnt(0)
	s_barrier
	buffer_gl0_inv
	ds_read_b128 v[40:43], v159 offset:1920
	ds_read_b128 v[44:47], v159 offset:3200
	;; [unrolled: 1-line block ×9, first 2 shown]
	ds_read_b128 v[140:143], v159
	s_mov_b32 s4, 0x134454ff
	s_mov_b32 s5, 0xbfee6f0e
	;; [unrolled: 1-line block ×10, first 2 shown]
	s_waitcnt lgkmcnt(9)
	v_mul_f64 v[144:145], v[38:39], v[40:41]
	s_waitcnt lgkmcnt(8)
	v_mul_f64 v[146:147], v[54:55], v[44:45]
	;; [unrolled: 2-line block ×5, first 2 shown]
	v_mul_f64 v[38:39], v[38:39], v[42:43]
	v_mul_f64 v[54:55], v[54:55], v[46:47]
	;; [unrolled: 1-line block ×4, first 2 shown]
	s_waitcnt lgkmcnt(4)
	v_mul_f64 v[164:165], v[74:75], v[126:127]
	v_mul_f64 v[74:75], v[74:75], v[124:125]
	s_waitcnt lgkmcnt(3)
	v_mul_f64 v[166:167], v[70:71], v[130:131]
	v_mul_f64 v[70:71], v[70:71], v[128:129]
	s_waitcnt lgkmcnt(2)
	v_mul_f64 v[168:169], v[66:67], v[134:135]
	s_waitcnt lgkmcnt(1)
	v_mul_f64 v[170:171], v[62:63], v[136:137]
	v_mul_f64 v[66:67], v[66:67], v[132:133]
	;; [unrolled: 1-line block ×4, first 2 shown]
	s_mov_b32 s19, 0xbfd3c6ef
	s_mov_b32 s18, s0
	;; [unrolled: 1-line block ×4, first 2 shown]
	v_fma_f64 v[42:43], v[36:37], v[42:43], -v[144:145]
	v_fma_f64 v[46:47], v[52:53], v[46:47], -v[146:147]
	;; [unrolled: 1-line block ×4, first 2 shown]
	s_waitcnt lgkmcnt(0)
	v_fma_f64 v[36:37], v[36:37], v[40:41], v[38:39]
	v_fma_f64 v[44:45], v[52:53], v[44:45], v[54:55]
	;; [unrolled: 1-line block ×4, first 2 shown]
	v_fma_f64 v[54:55], v[32:33], v[122:123], -v[161:162]
	v_fma_f64 v[124:125], v[72:73], v[124:125], v[164:165]
	v_fma_f64 v[72:73], v[72:73], v[126:127], -v[74:75]
	v_fma_f64 v[38:39], v[68:69], v[128:129], v[166:167]
	;; [unrolled: 2-line block ×3, first 2 shown]
	v_fma_f64 v[70:71], v[60:61], v[138:139], -v[170:171]
	v_fma_f64 v[64:65], v[64:65], v[134:135], -v[66:67]
	v_fma_f64 v[52:53], v[60:61], v[136:137], v[62:63]
	v_fma_f64 v[32:33], v[32:33], v[120:121], v[34:35]
	s_barrier
	buffer_gl0_inv
	v_add_f64 v[161:162], v[42:43], -v[46:47]
	v_add_f64 v[56:57], v[46:47], v[114:115]
	v_add_f64 v[58:59], v[42:43], v[118:119]
	v_add_f64 v[150:151], v[42:43], -v[118:119]
	v_add_f64 v[164:165], v[118:119], -v[114:115]
	v_add_f64 v[170:171], v[46:47], -v[114:115]
	v_add_f64 v[116:117], v[44:45], v[48:49]
	v_add_f64 v[120:121], v[36:37], v[50:51]
	v_add_f64 v[122:123], v[36:37], -v[50:51]
	v_add_f64 v[126:127], v[44:45], -v[48:49]
	v_add_f64 v[34:35], v[140:141], v[124:125]
	v_add_f64 v[74:75], v[124:125], -v[38:39]
	v_add_f64 v[166:167], v[46:47], -v[42:43]
	v_add_f64 v[60:61], v[38:39], v[68:69]
	v_add_f64 v[148:149], v[72:73], v[70:71]
	;; [unrolled: 1-line block ×3, first 2 shown]
	v_add_f64 v[112:113], v[52:53], -v[68:69]
	v_add_f64 v[128:129], v[124:125], v[52:53]
	v_add_f64 v[168:169], v[114:115], -v[118:119]
	v_add_f64 v[134:135], v[142:143], v[72:73]
	v_add_f64 v[42:43], v[54:55], v[42:43]
	v_add_f64 v[62:63], v[72:73], -v[70:71]
	v_add_f64 v[66:67], v[40:41], -v[64:65]
	v_fma_f64 v[56:57], v[56:57], -0.5, v[54:55]
	v_fma_f64 v[58:59], v[58:59], -0.5, v[54:55]
	v_add_f64 v[130:131], v[38:39], -v[124:125]
	v_add_f64 v[132:133], v[68:69], -v[52:53]
	;; [unrolled: 1-line block ×3, first 2 shown]
	v_fma_f64 v[116:117], v[116:117], -0.5, v[32:33]
	v_fma_f64 v[120:121], v[120:121], -0.5, v[32:33]
	v_add_f64 v[32:33], v[32:33], v[36:37]
	v_add_f64 v[138:139], v[38:39], -v[68:69]
	v_add_f64 v[178:179], v[36:37], -v[44:45]
	;; [unrolled: 1-line block ×3, first 2 shown]
	v_add_f64 v[34:35], v[34:35], v[38:39]
	v_fma_f64 v[54:55], v[60:61], -0.5, v[140:141]
	v_add_f64 v[36:37], v[44:45], -v[36:37]
	v_add_f64 v[182:183], v[48:49], -v[50:51]
	v_add_f64 v[60:61], v[74:75], v[112:113]
	v_fma_f64 v[38:39], v[128:129], -0.5, v[140:141]
	v_fma_f64 v[74:75], v[136:137], -0.5, v[142:143]
	;; [unrolled: 1-line block ×3, first 2 shown]
	v_add_f64 v[128:129], v[161:162], v[164:165]
	v_add_f64 v[136:137], v[166:167], v[168:169]
	v_add_f64 v[144:145], v[72:73], -v[40:41]
	v_fma_f64 v[174:175], v[122:123], s[2:3], v[56:57]
	v_fma_f64 v[176:177], v[126:127], s[4:5], v[58:59]
	;; [unrolled: 1-line block ×4, first 2 shown]
	v_add_f64 v[72:73], v[40:41], -v[72:73]
	v_fma_f64 v[140:141], v[150:151], s[4:5], v[116:117]
	v_fma_f64 v[142:143], v[170:171], s[2:3], v[120:121]
	;; [unrolled: 1-line block ×4, first 2 shown]
	v_add_f64 v[40:41], v[134:135], v[40:41]
	v_add_f64 v[32:33], v[32:33], v[44:45]
	;; [unrolled: 1-line block ×3, first 2 shown]
	v_add_f64 v[146:147], v[70:71], -v[64:65]
	v_add_f64 v[44:45], v[178:179], v[180:181]
	v_fma_f64 v[46:47], v[62:63], s[4:5], v[54:55]
	v_fma_f64 v[54:55], v[62:63], s[2:3], v[54:55]
	v_add_f64 v[172:173], v[64:65], -v[70:71]
	v_add_f64 v[36:37], v[36:37], v[182:183]
	v_add_f64 v[34:35], v[34:35], v[68:69]
	v_fma_f64 v[148:149], v[126:127], s[14:15], v[174:175]
	v_fma_f64 v[161:162], v[122:123], s[14:15], v[176:177]
	;; [unrolled: 1-line block ×4, first 2 shown]
	v_add_f64 v[122:123], v[130:131], v[132:133]
	v_fma_f64 v[126:127], v[66:67], s[2:3], v[38:39]
	v_fma_f64 v[38:39], v[66:67], s[4:5], v[38:39]
	v_fma_f64 v[130:131], v[124:125], s[2:3], v[74:75]
	v_fma_f64 v[74:75], v[124:125], s[4:5], v[74:75]
	v_fma_f64 v[134:135], v[170:171], s[12:13], v[140:141]
	v_fma_f64 v[140:141], v[150:151], s[12:13], v[142:143]
	v_fma_f64 v[132:133], v[138:139], s[4:5], v[112:113]
	v_fma_f64 v[112:113], v[138:139], s[2:3], v[112:113]
	v_fma_f64 v[116:117], v[170:171], s[14:15], v[116:117]
	v_fma_f64 v[120:121], v[150:151], s[14:15], v[120:121]
	v_add_f64 v[40:41], v[40:41], v[64:65]
	v_add_f64 v[32:33], v[32:33], v[48:49]
	;; [unrolled: 1-line block ×3, first 2 shown]
	v_fma_f64 v[46:47], v[66:67], s[12:13], v[46:47]
	v_fma_f64 v[48:49], v[66:67], s[14:15], v[54:55]
	v_add_f64 v[72:73], v[72:73], v[172:173]
	v_add_f64 v[52:53], v[34:35], v[52:53]
	v_fma_f64 v[142:143], v[128:129], s[0:1], v[148:149]
	v_fma_f64 v[148:149], v[136:137], s[0:1], v[161:162]
	;; [unrolled: 1-line block ×4, first 2 shown]
	v_add_f64 v[128:129], v[144:145], v[146:147]
	v_fma_f64 v[54:55], v[62:63], s[12:13], v[126:127]
	v_fma_f64 v[38:39], v[62:63], s[14:15], v[38:39]
	;; [unrolled: 1-line block ×10, first 2 shown]
	v_add_f64 v[40:41], v[40:41], v[70:71]
	v_add_f64 v[50:51], v[32:33], v[50:51]
	;; [unrolled: 1-line block ×3, first 2 shown]
	v_fma_f64 v[70:71], v[60:61], s[0:1], v[46:47]
	v_fma_f64 v[118:119], v[60:61], s[0:1], v[48:49]
	v_mul_f64 v[114:115], v[142:143], s[12:13]
	v_mul_f64 v[126:127], v[142:143], s[16:17]
	;; [unrolled: 1-line block ×8, first 2 shown]
	v_fma_f64 v[62:63], v[128:129], s[0:1], v[62:63]
	v_fma_f64 v[128:129], v[128:129], s[0:1], v[64:65]
	;; [unrolled: 1-line block ×6, first 2 shown]
	v_add_f64 v[32:33], v[52:53], v[50:51]
	v_add_f64 v[34:35], v[40:41], v[42:43]
	v_add_f64 v[38:39], v[40:41], -v[42:43]
	v_fma_f64 v[64:65], v[74:75], s[16:17], v[114:115]
	v_fma_f64 v[74:75], v[74:75], s[14:15], v[126:127]
	;; [unrolled: 1-line block ×8, first 2 shown]
	v_add_f64 v[36:37], v[52:53], -v[50:51]
	v_add_f64 v[40:41], v[70:71], v[64:65]
	v_add_f64 v[42:43], v[62:63], v[74:75]
	;; [unrolled: 1-line block ×8, first 2 shown]
	v_add_f64 v[56:57], v[70:71], -v[64:65]
	v_add_f64 v[58:59], v[62:63], -v[74:75]
	;; [unrolled: 1-line block ×8, first 2 shown]
	ds_write_b128 v163, v[32:35]
	ds_write_b128 v163, v[36:39] offset:320
	ds_write_b128 v163, v[40:43] offset:64
	;; [unrolled: 1-line block ×9, first 2 shown]
	s_waitcnt lgkmcnt(0)
	s_barrier
	buffer_gl0_inv
	ds_read_b128 v[32:35], v159 offset:1920
	ds_read_b128 v[36:39], v159 offset:3200
	;; [unrolled: 1-line block ×9, first 2 shown]
	s_waitcnt lgkmcnt(8)
	v_mul_f64 v[68:69], v[90:91], v[32:33]
	s_waitcnt lgkmcnt(7)
	v_mul_f64 v[70:71], v[82:83], v[36:37]
	;; [unrolled: 2-line block ×5, first 2 shown]
	v_mul_f64 v[90:91], v[90:91], v[34:35]
	v_mul_f64 v[82:83], v[82:83], v[38:39]
	;; [unrolled: 1-line block ×4, first 2 shown]
	s_waitcnt lgkmcnt(3)
	v_mul_f64 v[114:115], v[110:111], v[54:55]
	v_mul_f64 v[110:111], v[110:111], v[52:53]
	s_waitcnt lgkmcnt(2)
	v_mul_f64 v[116:117], v[106:107], v[58:59]
	v_mul_f64 v[106:107], v[106:107], v[56:57]
	s_waitcnt lgkmcnt(1)
	v_mul_f64 v[118:119], v[102:103], v[62:63]
	s_waitcnt lgkmcnt(0)
	v_mul_f64 v[120:121], v[98:99], v[64:65]
	v_mul_f64 v[102:103], v[102:103], v[60:61]
	;; [unrolled: 1-line block ×3, first 2 shown]
	v_fma_f64 v[34:35], v[88:89], v[34:35], -v[68:69]
	v_fma_f64 v[38:39], v[80:81], v[38:39], -v[70:71]
	;; [unrolled: 1-line block ×4, first 2 shown]
	v_mul_f64 v[72:73], v[78:79], v[50:51]
	v_fma_f64 v[32:33], v[88:89], v[32:33], v[90:91]
	v_fma_f64 v[36:37], v[80:81], v[36:37], v[82:83]
	;; [unrolled: 1-line block ×4, first 2 shown]
	v_fma_f64 v[50:51], v[76:77], v[50:51], -v[112:113]
	v_fma_f64 v[52:53], v[108:109], v[52:53], v[114:115]
	v_fma_f64 v[54:55], v[108:109], v[54:55], -v[110:111]
	v_fma_f64 v[56:57], v[104:105], v[56:57], v[116:117]
	;; [unrolled: 2-line block ×3, first 2 shown]
	v_fma_f64 v[66:67], v[96:97], v[66:67], -v[120:121]
	v_fma_f64 v[62:63], v[100:101], v[62:63], -v[102:103]
	v_fma_f64 v[64:65], v[96:97], v[64:65], v[98:99]
	ds_read_b128 v[68:71], v159
	v_add_f64 v[116:117], v[34:35], -v[38:39]
	v_add_f64 v[74:75], v[38:39], v[42:43]
	v_add_f64 v[78:79], v[34:35], v[46:47]
	v_fma_f64 v[48:49], v[76:77], v[48:49], v[72:73]
	v_add_f64 v[114:115], v[34:35], -v[46:47]
	v_add_f64 v[118:119], v[46:47], -v[42:43]
	v_add_f64 v[88:89], v[36:37], v[40:41]
	v_add_f64 v[90:91], v[32:33], v[44:45]
	v_add_f64 v[92:93], v[32:33], -v[44:45]
	v_add_f64 v[94:95], v[36:37], -v[40:41]
	;; [unrolled: 1-line block ×5, first 2 shown]
	v_add_f64 v[76:77], v[56:57], v[60:61]
	v_add_f64 v[112:113], v[54:55], v[66:67]
	s_waitcnt lgkmcnt(0)
	v_add_f64 v[72:73], v[68:69], v[52:53]
	v_add_f64 v[86:87], v[64:65], -v[60:61]
	v_add_f64 v[96:97], v[52:53], v[64:65]
	v_add_f64 v[104:105], v[58:59], v[62:63]
	v_add_f64 v[122:123], v[42:43], -v[46:47]
	v_add_f64 v[102:103], v[70:71], v[54:55]
	v_add_f64 v[34:35], v[50:51], v[34:35]
	v_add_f64 v[80:81], v[54:55], -v[66:67]
	v_fma_f64 v[74:75], v[74:75], -0.5, v[50:51]
	v_fma_f64 v[78:79], v[78:79], -0.5, v[50:51]
	v_add_f64 v[82:83], v[58:59], -v[62:63]
	v_add_f64 v[98:99], v[56:57], -v[52:53]
	;; [unrolled: 1-line block ×3, first 2 shown]
	v_fma_f64 v[88:89], v[88:89], -0.5, v[48:49]
	v_fma_f64 v[90:91], v[90:91], -0.5, v[48:49]
	v_add_f64 v[48:49], v[48:49], v[32:33]
	v_add_f64 v[52:53], v[52:53], -v[64:65]
	v_add_f64 v[106:107], v[56:57], -v[60:61]
	;; [unrolled: 1-line block ×6, first 2 shown]
	v_fma_f64 v[50:51], v[76:77], -0.5, v[68:69]
	v_add_f64 v[56:57], v[72:73], v[56:57]
	v_fma_f64 v[68:69], v[96:97], -0.5, v[68:69]
	v_add_f64 v[72:73], v[84:85], v[86:87]
	v_fma_f64 v[76:77], v[104:105], -0.5, v[70:71]
	v_fma_f64 v[70:71], v[112:113], -0.5, v[70:71]
	v_add_f64 v[84:85], v[116:117], v[118:119]
	v_add_f64 v[86:87], v[120:121], v[122:123]
	v_fma_f64 v[128:129], v[92:93], s[2:3], v[74:75]
	v_fma_f64 v[130:131], v[94:95], s[4:5], v[78:79]
	;; [unrolled: 1-line block ×4, first 2 shown]
	v_add_f64 v[108:109], v[54:55], -v[58:59]
	v_fma_f64 v[96:97], v[114:115], s[4:5], v[88:89]
	v_fma_f64 v[104:105], v[124:125], s[2:3], v[90:91]
	;; [unrolled: 1-line block ×4, first 2 shown]
	v_add_f64 v[54:55], v[58:59], -v[54:55]
	v_add_f64 v[58:59], v[102:103], v[58:59]
	v_add_f64 v[36:37], v[48:49], v[36:37]
	;; [unrolled: 1-line block ×3, first 2 shown]
	v_add_f64 v[110:111], v[66:67], -v[62:63]
	v_add_f64 v[48:49], v[132:133], v[134:135]
	v_add_f64 v[32:33], v[32:33], v[136:137]
	v_fma_f64 v[38:39], v[80:81], s[4:5], v[50:51]
	v_fma_f64 v[50:51], v[80:81], s[2:3], v[50:51]
	v_add_f64 v[126:127], v[62:63], -v[66:67]
	v_add_f64 v[56:57], v[56:57], v[60:61]
	v_fma_f64 v[112:113], v[94:95], s[14:15], v[128:129]
	v_fma_f64 v[116:117], v[92:93], s[14:15], v[130:131]
	;; [unrolled: 1-line block ×4, first 2 shown]
	v_add_f64 v[92:93], v[98:99], v[100:101]
	v_fma_f64 v[94:95], v[82:83], s[2:3], v[68:69]
	v_fma_f64 v[68:69], v[82:83], s[4:5], v[68:69]
	;; [unrolled: 1-line block ×10, first 2 shown]
	v_add_f64 v[58:59], v[58:59], v[62:63]
	v_add_f64 v[36:37], v[36:37], v[40:41]
	;; [unrolled: 1-line block ×3, first 2 shown]
	v_fma_f64 v[38:39], v[82:83], s[12:13], v[38:39]
	v_fma_f64 v[40:41], v[82:83], s[14:15], v[50:51]
	v_add_f64 v[54:55], v[54:55], v[126:127]
	v_add_f64 v[56:57], v[56:57], v[64:65]
	v_fma_f64 v[104:105], v[84:85], s[0:1], v[112:113]
	v_fma_f64 v[112:113], v[86:87], s[0:1], v[116:117]
	v_fma_f64 v[78:79], v[86:87], s[0:1], v[78:79]
	v_fma_f64 v[74:75], v[84:85], s[0:1], v[74:75]
	v_add_f64 v[84:85], v[108:109], v[110:111]
	v_fma_f64 v[42:43], v[80:81], s[12:13], v[94:95]
	v_fma_f64 v[50:51], v[80:81], s[14:15], v[68:69]
	;; [unrolled: 1-line block ×10, first 2 shown]
	v_add_f64 v[58:59], v[58:59], v[66:67]
	v_add_f64 v[36:37], v[36:37], v[44:45]
	;; [unrolled: 1-line block ×3, first 2 shown]
	v_fma_f64 v[64:65], v[72:73], s[0:1], v[38:39]
	v_fma_f64 v[66:67], v[72:73], s[0:1], v[40:41]
	v_mad_u64_u32 v[96:97], null, s10, v158, 0
	v_mul_f64 v[80:81], v[104:105], s[12:13]
	v_mul_f64 v[90:91], v[104:105], s[16:17]
	;; [unrolled: 1-line block ×8, first 2 shown]
	v_fma_f64 v[98:99], v[84:85], s[0:1], v[60:61]
	v_fma_f64 v[72:73], v[92:93], s[0:1], v[42:43]
	;; [unrolled: 1-line block ×6, first 2 shown]
	s_mul_i32 s4, s8, 0x64
	s_mul_i32 s10, s8, 0xfffffefc
	v_add_f64 v[34:35], v[58:59], v[44:45]
	v_add_f64 v[38:39], v[58:59], -v[44:45]
	v_fma_f64 v[60:61], v[70:71], s[16:17], v[80:81]
	v_fma_f64 v[70:71], v[70:71], s[14:15], v[90:91]
	;; [unrolled: 1-line block ×8, first 2 shown]
	v_add_f64 v[32:33], v[56:57], v[36:37]
	v_add_f64 v[36:37], v[56:57], -v[36:37]
	v_mov_b32_e32 v88, v97
	v_mad_u64_u32 v[86:87], null, s8, v160, 0
	s_mul_i32 s0, s9, 0x64
	s_mul_hi_u32 s1, s8, 0x64
	s_mov_b32 s2, 0x47ae147b
	s_add_i32 s5, s1, s0
	s_mov_b32 s3, 0x3f647ae1
	s_lshl_b64 s[4:5], s[4:5], 4
	v_add_f64 v[40:41], v[64:65], v[60:61]
	v_add_f64 v[42:43], v[98:99], v[70:71]
	;; [unrolled: 1-line block ×8, first 2 shown]
	v_add_f64 v[56:57], v[64:65], -v[60:61]
	v_add_f64 v[58:59], v[98:99], -v[70:71]
	;; [unrolled: 1-line block ×8, first 2 shown]
	v_mad_u64_u32 v[72:73], null, s11, v158, v[88:89]
	v_mad_u64_u32 v[73:74], null, s9, v160, v[87:88]
	ds_write_b128 v159, v[32:35]
	ds_write_b128 v159, v[36:39] offset:3200
	ds_write_b128 v159, v[40:43] offset:640
	;; [unrolled: 1-line block ×9, first 2 shown]
	v_mov_b32_e32 v97, v72
	s_waitcnt lgkmcnt(0)
	s_barrier
	buffer_gl0_inv
	ds_read_b128 v[32:35], v159
	ds_read_b128 v[36:39], v159 offset:1600
	v_lshlrev_b64 v[60:61], 4, v[96:97]
	ds_read_b128 v[40:43], v159 offset:3200
	ds_read_b128 v[44:47], v159 offset:4800
	;; [unrolled: 1-line block ×5, first 2 shown]
	v_mov_b32_e32 v87, v73
	s_mul_hi_u32 s11, s8, 0xfffffefc
	s_mulk_i32 s9, 0xfefc
	v_add_co_u32 v66, s0, s6, v60
	v_add_co_ci_u32_e64 v67, s0, s7, v61, s0
	ds_read_b128 v[60:63], v159 offset:5440
	v_lshlrev_b64 v[64:65], 4, v[86:87]
	s_sub_i32 s1, s11, s8
	s_add_i32 s11, s1, s9
	s_lshl_b64 s[6:7], s[10:11], 4
	v_add_co_u32 v64, s0, v66, v64
	v_add_co_ci_u32_e64 v65, s0, v67, v65, s0
	s_waitcnt lgkmcnt(7)
	v_mul_f64 v[66:67], v[6:7], v[34:35]
	v_mul_f64 v[6:7], v[6:7], v[32:33]
	s_waitcnt lgkmcnt(6)
	v_mul_f64 v[68:69], v[2:3], v[38:39]
	v_mul_f64 v[2:3], v[2:3], v[36:37]
	;; [unrolled: 3-line block ×8, first 2 shown]
	v_add_co_u32 v82, s0, v64, s4
	v_add_co_ci_u32_e64 v83, s0, s5, v65, s0
	v_add_co_u32 v84, s0, v82, s4
	v_fma_f64 v[32:33], v[4:5], v[32:33], v[66:67]
	v_fma_f64 v[4:5], v[4:5], v[34:35], -v[6:7]
	v_fma_f64 v[6:7], v[0:1], v[36:37], v[68:69]
	v_fma_f64 v[0:1], v[0:1], v[38:39], -v[2:3]
	;; [unrolled: 2-line block ×8, first 2 shown]
	v_add_co_ci_u32_e64 v85, s0, s5, v83, s0
	v_add_co_u32 v54, s0, v84, s4
	v_add_co_ci_u32_e64 v55, s0, s5, v85, s0
	v_add_co_u32 v56, s0, v54, s6
	v_mul_f64 v[2:3], v[32:33], s[2:3]
	v_mul_f64 v[4:5], v[4:5], s[2:3]
	;; [unrolled: 1-line block ×4, first 2 shown]
	v_add_co_ci_u32_e64 v57, s0, s7, v55, s0
	v_mul_f64 v[10:11], v[34:35], s[2:3]
	v_mul_f64 v[12:13], v[16:17], s[2:3]
	;; [unrolled: 1-line block ×8, first 2 shown]
	v_add_co_u32 v34, s0, v56, s4
	v_mul_f64 v[26:27], v[46:47], s[2:3]
	v_mul_f64 v[28:29], v[48:49], s[2:3]
	;; [unrolled: 1-line block ×4, first 2 shown]
	v_add_co_ci_u32_e64 v35, s0, s5, v57, s0
	v_add_co_u32 v36, s0, v34, s4
	v_add_co_ci_u32_e64 v37, s0, s5, v35, s0
	v_add_co_u32 v0, s0, v36, s4
	v_add_co_ci_u32_e64 v1, s0, s5, v37, s0
	global_store_dwordx4 v[64:65], v[2:5], off
	global_store_dwordx4 v[82:83], v[6:9], off
	;; [unrolled: 1-line block ×8, first 2 shown]
	s_and_b32 exec_lo, exec_lo, vcc_lo
	s_cbranch_execz .LBB0_15
; %bb.14:
	s_clause 0x3
	global_load_dwordx4 v[2:5], v[152:153], off offset:1280
	global_load_dwordx4 v[6:9], v[156:157], off offset:832
	;; [unrolled: 1-line block ×4, first 2 shown]
	ds_read_b128 v[18:21], v159 offset:1280
	ds_read_b128 v[22:25], v159 offset:2880
	;; [unrolled: 1-line block ×4, first 2 shown]
	v_add_co_u32 v0, vcc_lo, v0, s6
	v_add_co_ci_u32_e32 v1, vcc_lo, s7, v1, vcc_lo
	s_waitcnt vmcnt(3) lgkmcnt(3)
	v_mul_f64 v[34:35], v[20:21], v[4:5]
	v_mul_f64 v[4:5], v[18:19], v[4:5]
	s_waitcnt vmcnt(2) lgkmcnt(2)
	v_mul_f64 v[36:37], v[24:25], v[8:9]
	v_mul_f64 v[8:9], v[22:23], v[8:9]
	;; [unrolled: 3-line block ×4, first 2 shown]
	v_fma_f64 v[18:19], v[18:19], v[2:3], v[34:35]
	v_fma_f64 v[4:5], v[2:3], v[20:21], -v[4:5]
	v_fma_f64 v[20:21], v[22:23], v[6:7], v[36:37]
	v_fma_f64 v[8:9], v[6:7], v[24:25], -v[8:9]
	;; [unrolled: 2-line block ×4, first 2 shown]
	v_mul_f64 v[2:3], v[18:19], s[2:3]
	v_mul_f64 v[4:5], v[4:5], s[2:3]
	;; [unrolled: 1-line block ×8, first 2 shown]
	v_add_co_u32 v18, vcc_lo, v0, s4
	v_add_co_ci_u32_e32 v19, vcc_lo, s5, v1, vcc_lo
	v_add_co_u32 v20, vcc_lo, v18, s4
	v_add_co_ci_u32_e32 v21, vcc_lo, s5, v19, vcc_lo
	;; [unrolled: 2-line block ×3, first 2 shown]
	global_store_dwordx4 v[0:1], v[2:5], off
	global_store_dwordx4 v[18:19], v[6:9], off
	;; [unrolled: 1-line block ×4, first 2 shown]
.LBB0_15:
	s_endpgm
	.section	.rodata,"a",@progbits
	.p2align	6, 0x0
	.amdhsa_kernel bluestein_single_back_len400_dim1_dp_op_CI_CI
		.amdhsa_group_segment_fixed_size 19200
		.amdhsa_private_segment_fixed_size 0
		.amdhsa_kernarg_size 104
		.amdhsa_user_sgpr_count 6
		.amdhsa_user_sgpr_private_segment_buffer 1
		.amdhsa_user_sgpr_dispatch_ptr 0
		.amdhsa_user_sgpr_queue_ptr 0
		.amdhsa_user_sgpr_kernarg_segment_ptr 1
		.amdhsa_user_sgpr_dispatch_id 0
		.amdhsa_user_sgpr_flat_scratch_init 0
		.amdhsa_user_sgpr_private_segment_size 0
		.amdhsa_wavefront_size32 1
		.amdhsa_uses_dynamic_stack 0
		.amdhsa_system_sgpr_private_segment_wavefront_offset 0
		.amdhsa_system_sgpr_workgroup_id_x 1
		.amdhsa_system_sgpr_workgroup_id_y 0
		.amdhsa_system_sgpr_workgroup_id_z 0
		.amdhsa_system_sgpr_workgroup_info 0
		.amdhsa_system_vgpr_workitem_id 0
		.amdhsa_next_free_vgpr 233
		.amdhsa_next_free_sgpr 22
		.amdhsa_reserve_vcc 1
		.amdhsa_reserve_flat_scratch 0
		.amdhsa_float_round_mode_32 0
		.amdhsa_float_round_mode_16_64 0
		.amdhsa_float_denorm_mode_32 3
		.amdhsa_float_denorm_mode_16_64 3
		.amdhsa_dx10_clamp 1
		.amdhsa_ieee_mode 1
		.amdhsa_fp16_overflow 0
		.amdhsa_workgroup_processor_mode 1
		.amdhsa_memory_ordered 1
		.amdhsa_forward_progress 0
		.amdhsa_shared_vgpr_count 0
		.amdhsa_exception_fp_ieee_invalid_op 0
		.amdhsa_exception_fp_denorm_src 0
		.amdhsa_exception_fp_ieee_div_zero 0
		.amdhsa_exception_fp_ieee_overflow 0
		.amdhsa_exception_fp_ieee_underflow 0
		.amdhsa_exception_fp_ieee_inexact 0
		.amdhsa_exception_int_div_zero 0
	.end_amdhsa_kernel
	.text
.Lfunc_end0:
	.size	bluestein_single_back_len400_dim1_dp_op_CI_CI, .Lfunc_end0-bluestein_single_back_len400_dim1_dp_op_CI_CI
                                        ; -- End function
	.section	.AMDGPU.csdata,"",@progbits
; Kernel info:
; codeLenInByte = 11828
; NumSgprs: 24
; NumVgprs: 233
; ScratchSize: 0
; MemoryBound: 0
; FloatMode: 240
; IeeeMode: 1
; LDSByteSize: 19200 bytes/workgroup (compile time only)
; SGPRBlocks: 2
; VGPRBlocks: 29
; NumSGPRsForWavesPerEU: 24
; NumVGPRsForWavesPerEU: 233
; Occupancy: 4
; WaveLimiterHint : 1
; COMPUTE_PGM_RSRC2:SCRATCH_EN: 0
; COMPUTE_PGM_RSRC2:USER_SGPR: 6
; COMPUTE_PGM_RSRC2:TRAP_HANDLER: 0
; COMPUTE_PGM_RSRC2:TGID_X_EN: 1
; COMPUTE_PGM_RSRC2:TGID_Y_EN: 0
; COMPUTE_PGM_RSRC2:TGID_Z_EN: 0
; COMPUTE_PGM_RSRC2:TIDIG_COMP_CNT: 0
	.text
	.p2alignl 6, 3214868480
	.fill 48, 4, 3214868480
	.type	__hip_cuid_fd45368c69d9e4f,@object ; @__hip_cuid_fd45368c69d9e4f
	.section	.bss,"aw",@nobits
	.globl	__hip_cuid_fd45368c69d9e4f
__hip_cuid_fd45368c69d9e4f:
	.byte	0                               ; 0x0
	.size	__hip_cuid_fd45368c69d9e4f, 1

	.ident	"AMD clang version 19.0.0git (https://github.com/RadeonOpenCompute/llvm-project roc-6.4.0 25133 c7fe45cf4b819c5991fe208aaa96edf142730f1d)"
	.section	".note.GNU-stack","",@progbits
	.addrsig
	.addrsig_sym __hip_cuid_fd45368c69d9e4f
	.amdgpu_metadata
---
amdhsa.kernels:
  - .args:
      - .actual_access:  read_only
        .address_space:  global
        .offset:         0
        .size:           8
        .value_kind:     global_buffer
      - .actual_access:  read_only
        .address_space:  global
        .offset:         8
        .size:           8
        .value_kind:     global_buffer
      - .actual_access:  read_only
        .address_space:  global
        .offset:         16
        .size:           8
        .value_kind:     global_buffer
      - .actual_access:  read_only
        .address_space:  global
        .offset:         24
        .size:           8
        .value_kind:     global_buffer
      - .actual_access:  read_only
        .address_space:  global
        .offset:         32
        .size:           8
        .value_kind:     global_buffer
      - .offset:         40
        .size:           8
        .value_kind:     by_value
      - .address_space:  global
        .offset:         48
        .size:           8
        .value_kind:     global_buffer
      - .address_space:  global
        .offset:         56
        .size:           8
        .value_kind:     global_buffer
      - .address_space:  global
        .offset:         64
        .size:           8
        .value_kind:     global_buffer
      - .address_space:  global
        .offset:         72
        .size:           8
        .value_kind:     global_buffer
      - .offset:         80
        .size:           4
        .value_kind:     by_value
      - .address_space:  global
        .offset:         88
        .size:           8
        .value_kind:     global_buffer
      - .address_space:  global
        .offset:         96
        .size:           8
        .value_kind:     global_buffer
    .group_segment_fixed_size: 19200
    .kernarg_segment_align: 8
    .kernarg_segment_size: 104
    .language:       OpenCL C
    .language_version:
      - 2
      - 0
    .max_flat_workgroup_size: 120
    .name:           bluestein_single_back_len400_dim1_dp_op_CI_CI
    .private_segment_fixed_size: 0
    .sgpr_count:     24
    .sgpr_spill_count: 0
    .symbol:         bluestein_single_back_len400_dim1_dp_op_CI_CI.kd
    .uniform_work_group_size: 1
    .uses_dynamic_stack: false
    .vgpr_count:     233
    .vgpr_spill_count: 0
    .wavefront_size: 32
    .workgroup_processor_mode: 1
amdhsa.target:   amdgcn-amd-amdhsa--gfx1030
amdhsa.version:
  - 1
  - 2
...

	.end_amdgpu_metadata
